;; amdgpu-corpus repo=ROCm/rocFFT kind=compiled arch=gfx1201 opt=O3
	.text
	.amdgcn_target "amdgcn-amd-amdhsa--gfx1201"
	.amdhsa_code_object_version 6
	.protected	fft_rtc_fwd_len192_factors_3_4_4_4_wgs_256_tpt_16_halfLds_dim3_sp_ip_CI_sbrr_dirReg ; -- Begin function fft_rtc_fwd_len192_factors_3_4_4_4_wgs_256_tpt_16_halfLds_dim3_sp_ip_CI_sbrr_dirReg
	.globl	fft_rtc_fwd_len192_factors_3_4_4_4_wgs_256_tpt_16_halfLds_dim3_sp_ip_CI_sbrr_dirReg
	.p2align	8
	.type	fft_rtc_fwd_len192_factors_3_4_4_4_wgs_256_tpt_16_halfLds_dim3_sp_ip_CI_sbrr_dirReg,@function
fft_rtc_fwd_len192_factors_3_4_4_4_wgs_256_tpt_16_halfLds_dim3_sp_ip_CI_sbrr_dirReg: ; @fft_rtc_fwd_len192_factors_3_4_4_4_wgs_256_tpt_16_halfLds_dim3_sp_ip_CI_sbrr_dirReg
; %bb.0:
	s_load_b128 s[4:7], s[0:1], 0x8
	v_dual_mov_b32 v4, 0 :: v_dual_mov_b32 v1, 0
	v_lshrrev_b32_e32 v40, 4, v0
	v_mov_b32_e32 v2, 0
	s_mov_b32 s8, exec_lo
	s_delay_alu instid0(VALU_DEP_2) | instskip(NEXT) | instid1(VALU_DEP_2)
	v_lshl_or_b32 v3, ttmp9, 4, v40
	v_dual_mov_b32 v6, v2 :: v_dual_mov_b32 v5, v1
	s_wait_kmcnt 0x0
	s_load_b64 s[2:3], s[4:5], 0x8
	s_wait_kmcnt 0x0
	v_cmpx_le_u64_e64 s[2:3], v[3:4]
	s_cbranch_execz .LBB0_2
; %bb.1:
	v_cvt_f32_u32_e32 v5, s2
	s_sub_co_i32 s9, 0, s2
	s_delay_alu instid0(VALU_DEP_1) | instskip(NEXT) | instid1(TRANS32_DEP_1)
	v_rcp_iflag_f32_e32 v5, v5
	v_mul_f32_e32 v5, 0x4f7ffffe, v5
	s_delay_alu instid0(VALU_DEP_1) | instskip(NEXT) | instid1(VALU_DEP_1)
	v_cvt_u32_f32_e32 v5, v5
	v_mul_lo_u32 v6, s9, v5
	s_delay_alu instid0(VALU_DEP_1) | instskip(NEXT) | instid1(VALU_DEP_1)
	v_mul_hi_u32 v6, v5, v6
	v_add_nc_u32_e32 v5, v5, v6
	s_delay_alu instid0(VALU_DEP_1) | instskip(NEXT) | instid1(VALU_DEP_1)
	v_mul_hi_u32 v5, v3, v5
	v_mul_lo_u32 v6, v5, s2
	v_add_nc_u32_e32 v7, 1, v5
	s_delay_alu instid0(VALU_DEP_2) | instskip(NEXT) | instid1(VALU_DEP_1)
	v_sub_nc_u32_e32 v6, v3, v6
	v_subrev_nc_u32_e32 v8, s2, v6
	v_cmp_le_u32_e32 vcc_lo, s2, v6
	s_delay_alu instid0(VALU_DEP_2) | instskip(NEXT) | instid1(VALU_DEP_1)
	v_dual_cndmask_b32 v6, v6, v8 :: v_dual_cndmask_b32 v5, v5, v7
	v_cmp_le_u32_e32 vcc_lo, s2, v6
	s_delay_alu instid0(VALU_DEP_2) | instskip(SKIP_1) | instid1(VALU_DEP_1)
	v_dual_mov_b32 v6, v4 :: v_dual_add_nc_u32 v7, 1, v5
	s_wait_alu 0xfffd
	v_cndmask_b32_e32 v5, v5, v7, vcc_lo
.LBB0_2:
	s_or_b32 exec_lo, exec_lo, s8
	s_load_b64 s[8:9], s[4:5], 0x10
	s_load_b64 s[4:5], s[6:7], 0x8
	s_mov_b32 s10, exec_lo
	s_wait_kmcnt 0x0
	v_cmpx_le_u64_e64 s[8:9], v[5:6]
	s_cbranch_execz .LBB0_4
; %bb.3:
	v_cvt_f32_u32_e32 v1, s8
	s_sub_co_i32 s11, 0, s8
	s_delay_alu instid0(VALU_DEP_1) | instskip(NEXT) | instid1(TRANS32_DEP_1)
	v_rcp_iflag_f32_e32 v1, v1
	v_mul_f32_e32 v1, 0x4f7ffffe, v1
	s_delay_alu instid0(VALU_DEP_1) | instskip(NEXT) | instid1(VALU_DEP_1)
	v_cvt_u32_f32_e32 v1, v1
	v_mul_lo_u32 v2, s11, v1
	s_delay_alu instid0(VALU_DEP_1) | instskip(NEXT) | instid1(VALU_DEP_1)
	v_mul_hi_u32 v2, v1, v2
	v_add_nc_u32_e32 v1, v1, v2
	s_delay_alu instid0(VALU_DEP_1) | instskip(NEXT) | instid1(VALU_DEP_1)
	v_mul_hi_u32 v1, v5, v1
	v_mul_lo_u32 v2, v1, s8
	v_add_nc_u32_e32 v4, 1, v1
	s_delay_alu instid0(VALU_DEP_2) | instskip(NEXT) | instid1(VALU_DEP_1)
	v_sub_nc_u32_e32 v2, v5, v2
	v_subrev_nc_u32_e32 v7, s8, v2
	v_cmp_le_u32_e32 vcc_lo, s8, v2
	s_wait_alu 0xfffd
	s_delay_alu instid0(VALU_DEP_2) | instskip(NEXT) | instid1(VALU_DEP_1)
	v_dual_cndmask_b32 v2, v2, v7 :: v_dual_cndmask_b32 v1, v1, v4
	v_cmp_le_u32_e32 vcc_lo, s8, v2
	v_mov_b32_e32 v2, 0
	s_delay_alu instid0(VALU_DEP_3) | instskip(SKIP_1) | instid1(VALU_DEP_1)
	v_add_nc_u32_e32 v4, 1, v1
	s_wait_alu 0xfffd
	v_cndmask_b32_e32 v1, v1, v4, vcc_lo
.LBB0_4:
	s_or_b32 exec_lo, exec_lo, s10
	v_mad_co_u64_u32 v[7:8], null, v5, s2, 0
	s_load_b128 s[12:15], s[6:7], 0x10
	v_and_b32_e32 v28, 15, v0
                                        ; implicit-def: $vgpr38
                                        ; implicit-def: $vgpr39
                                        ; implicit-def: $vgpr41
	s_delay_alu instid0(VALU_DEP_1) | instskip(NEXT) | instid1(VALU_DEP_3)
	v_or_b32_e32 v27, 16, v28
	v_mov_b32_e32 v4, v8
	v_mad_co_u64_u32 v[8:9], null, v1, s8, 0
	v_sub_co_u32 v7, vcc_lo, v3, v7
	s_delay_alu instid0(VALU_DEP_3) | instskip(SKIP_1) | instid1(VALU_DEP_2)
	v_mad_co_u64_u32 v[10:11], null, v5, s3, v[4:5]
	s_load_b64 s[2:3], s[6:7], 0x0
	v_mul_lo_u32 v11, s5, v7
	s_delay_alu instid0(VALU_DEP_4) | instskip(SKIP_3) | instid1(VALU_DEP_4)
	v_mov_b32_e32 v4, v9
	v_or_b32_e32 v26, 32, v28
	v_or_b32_e32 v29, 48, v28
	v_mov_b32_e32 v9, v10
	v_mad_co_u64_u32 v[3:4], null, v1, s9, v[4:5]
	s_load_b64 s[8:9], s[0:1], 0x18
	s_delay_alu instid0(VALU_DEP_2) | instskip(SKIP_2) | instid1(VALU_DEP_3)
	v_sub_co_ci_u32_e32 v4, vcc_lo, 0, v9, vcc_lo
	v_mad_co_u64_u32 v[9:10], null, s4, v7, 0
	v_sub_co_u32 v5, vcc_lo, v5, v8
	v_mul_lo_u32 v4, s4, v4
	s_wait_alu 0xfffd
	v_sub_co_ci_u32_e32 v3, vcc_lo, v6, v3, vcc_lo
	s_wait_kmcnt 0x0
	v_mul_lo_u32 v6, s13, v5
	s_clause 0x1
	s_load_b64 s[4:5], s[0:1], 0x48
	s_load_b64 s[6:7], s[0:1], 0x0
	v_mul_lo_u32 v7, s12, v3
	v_add3_u32 v10, v10, v4, v11
	v_cmp_gt_u64_e32 vcc_lo, s[8:9], v[1:2]
	s_delay_alu instid0(VALU_DEP_2) | instskip(SKIP_1) | instid1(VALU_DEP_2)
	v_mad_co_u64_u32 v[3:4], null, s12, v5, v[9:10]
	v_cmp_le_u64_e64 s0, s[8:9], v[1:2]
	v_add3_u32 v4, v6, v4, v7
	s_delay_alu instid0(VALU_DEP_1) | instskip(NEXT) | instid1(VALU_DEP_1)
	v_mad_co_u64_u32 v[3:4], null, s14, v1, v[3:4]
	v_mad_co_u64_u32 v[4:5], null, s15, v1, v[4:5]
	s_delay_alu instid0(VALU_DEP_4)
	s_and_saveexec_b32 s1, s0
	s_wait_alu 0xfffe
	s_xor_b32 s0, exec_lo, s1
; %bb.5:
	v_or_b32_e32 v38, 16, v28
	v_or_b32_e32 v39, 32, v28
	;; [unrolled: 1-line block ×3, first 2 shown]
; %bb.6:
	s_wait_alu 0xfffe
	s_or_saveexec_b32 s1, s0
	v_lshlrev_b64_e32 v[0:1], 3, v[3:4]
	v_or_b32_e32 v33, 64, v28
	v_or_b32_e32 v30, 0x80, v28
	;; [unrolled: 1-line block ×8, first 2 shown]
                                        ; implicit-def: $vgpr5
                                        ; implicit-def: $vgpr13
                                        ; implicit-def: $vgpr11
                                        ; implicit-def: $vgpr25
                                        ; implicit-def: $vgpr23
                                        ; implicit-def: $vgpr7
                                        ; implicit-def: $vgpr19
                                        ; implicit-def: $vgpr9
                                        ; implicit-def: $vgpr15
                                        ; implicit-def: $vgpr17
                                        ; implicit-def: $vgpr21
                                        ; implicit-def: $vgpr3
	s_wait_alu 0xfffe
	s_xor_b32 exec_lo, exec_lo, s1
	s_cbranch_execz .LBB0_8
; %bb.7:
	v_mad_co_u64_u32 v[2:3], null, s2, v28, 0
	v_mad_co_u64_u32 v[4:5], null, s2, v33, 0
	;; [unrolled: 1-line block ×5, first 2 shown]
	s_delay_alu instid0(VALU_DEP_4) | instskip(NEXT) | instid1(VALU_DEP_4)
	v_mad_co_u64_u32 v[10:11], null, s3, v28, v[3:4]
	v_mov_b32_e32 v3, v7
	v_mad_co_u64_u32 v[11:12], null, s3, v33, v[5:6]
	v_mad_co_u64_u32 v[22:23], null, s2, v29, 0
	s_delay_alu instid0(VALU_DEP_3) | instskip(SKIP_4) | instid1(VALU_DEP_4)
	v_mad_co_u64_u32 v[12:13], null, s3, v30, v[3:4]
	v_mov_b32_e32 v3, v10
	v_mad_co_u64_u32 v[38:39], null, s2, v32, 0
	v_mov_b32_e32 v5, v11
	v_mov_b32_e32 v7, v9
	v_lshlrev_b64_e32 v[2:3], 3, v[2:3]
	s_wait_kmcnt 0x0
	v_add_co_u32 v45, s0, s4, v0
	s_wait_alu 0xf1ff
	v_add_co_ci_u32_e64 v46, s0, s5, v1, s0
	v_lshlrev_b64_e32 v[4:5], 3, v[4:5]
	v_mad_co_u64_u32 v[9:10], null, s3, v27, v[7:8]
	v_mov_b32_e32 v7, v12
	v_add_co_u32 v2, s0, v45, v2
	s_wait_alu 0xf1ff
	v_add_co_ci_u32_e64 v3, s0, v46, v3, s0
	v_add_co_u32 v10, s0, v45, v4
	s_wait_alu 0xf1ff
	v_add_co_ci_u32_e64 v11, s0, v46, v5, s0
	v_lshlrev_b64_e32 v[4:5], 3, v[6:7]
	v_lshlrev_b64_e32 v[6:7], 3, v[8:9]
	v_mov_b32_e32 v8, v15
	v_mad_co_u64_u32 v[16:17], null, s2, v35, 0
	s_delay_alu instid0(VALU_DEP_4)
	v_add_co_u32 v18, s0, v45, v4
	s_wait_alu 0xf1ff
	v_add_co_ci_u32_e64 v19, s0, v46, v5, s0
	v_mad_co_u64_u32 v[4:5], null, s3, v31, v[8:9]
	v_add_co_u32 v6, s0, v45, v6
	v_mov_b32_e32 v5, v17
	s_wait_alu 0xf1ff
	v_add_co_ci_u32_e64 v7, s0, v46, v7, s0
	v_mad_co_u64_u32 v[8:9], null, s2, v26, 0
	v_mov_b32_e32 v15, v4
	v_mad_co_u64_u32 v[20:21], null, s3, v35, v[5:6]
	s_clause 0x3
	global_load_b64 v[4:5], v[2:3], off
	global_load_b64 v[12:13], v[10:11], off
	;; [unrolled: 1-line block ×4, first 2 shown]
	v_mad_co_u64_u32 v[18:19], null, s2, v37, 0
	v_mov_b32_e32 v6, v9
	v_lshlrev_b64_e32 v[14:15], 3, v[14:15]
	v_mov_b32_e32 v17, v20
	v_mad_co_u64_u32 v[20:21], null, s2, v34, 0
	s_delay_alu instid0(VALU_DEP_4) | instskip(SKIP_1) | instid1(VALU_DEP_4)
	v_mad_co_u64_u32 v[6:7], null, s3, v26, v[6:7]
	v_mov_b32_e32 v7, v19
	v_lshlrev_b64_e32 v[16:17], 3, v[16:17]
	v_add_co_u32 v14, s0, v45, v14
	s_wait_alu 0xf1ff
	v_add_co_ci_u32_e64 v15, s0, v46, v15, s0
	v_mov_b32_e32 v9, v6
	v_mad_co_u64_u32 v[6:7], null, s3, v37, v[7:8]
	v_mov_b32_e32 v7, v21
	v_add_co_u32 v16, s0, v45, v16
	s_delay_alu instid0(VALU_DEP_4) | instskip(SKIP_3) | instid1(VALU_DEP_3)
	v_lshlrev_b64_e32 v[8:9], 3, v[8:9]
	s_wait_alu 0xf1ff
	v_add_co_ci_u32_e64 v17, s0, v46, v17, s0
	v_dual_mov_b32 v19, v6 :: v_dual_mov_b32 v6, v23
	v_mad_co_u64_u32 v[23:24], null, s3, v34, v[7:8]
	v_mad_co_u64_u32 v[24:25], null, s2, v36, 0
	s_delay_alu instid0(VALU_DEP_3) | instskip(SKIP_3) | instid1(VALU_DEP_4)
	v_mad_co_u64_u32 v[6:7], null, s3, v29, v[6:7]
	v_add_co_u32 v7, s0, v45, v8
	s_wait_alu 0xf1ff
	v_add_co_ci_u32_e64 v8, s0, v46, v9, s0
	v_mov_b32_e32 v9, v25
	v_mov_b32_e32 v21, v23
	v_dual_mov_b32 v23, v6 :: v_dual_mov_b32 v6, v39
	v_lshlrev_b64_e32 v[18:19], 3, v[18:19]
	s_delay_alu instid0(VALU_DEP_3) | instskip(NEXT) | instid1(VALU_DEP_3)
	v_lshlrev_b64_e32 v[20:21], 3, v[20:21]
	v_lshlrev_b64_e32 v[22:23], 3, v[22:23]
	s_delay_alu instid0(VALU_DEP_3) | instskip(SKIP_1) | instid1(VALU_DEP_4)
	v_add_co_u32 v18, s0, v45, v18
	s_wait_alu 0xf1ff
	v_add_co_ci_u32_e64 v19, s0, v46, v19, s0
	s_wait_loadcnt 0x1
	v_mad_co_u64_u32 v[41:42], null, s3, v36, v[9:10]
	v_mad_co_u64_u32 v[42:43], null, s3, v32, v[6:7]
	v_add_co_u32 v43, s0, v45, v20
	s_wait_alu 0xf1ff
	v_add_co_ci_u32_e64 v44, s0, v46, v21, s0
	s_delay_alu instid0(VALU_DEP_4)
	v_mov_b32_e32 v25, v41
	v_add_co_u32 v41, s0, v45, v22
	v_mov_b32_e32 v39, v42
	s_wait_alu 0xf1ff
	v_add_co_ci_u32_e64 v42, s0, v46, v23, s0
	v_lshlrev_b64_e32 v[20:21], 3, v[24:25]
	s_delay_alu instid0(VALU_DEP_3) | instskip(NEXT) | instid1(VALU_DEP_2)
	v_lshlrev_b64_e32 v[22:23], 3, v[38:39]
	v_add_co_u32 v38, s0, v45, v20
	s_wait_alu 0xf1ff
	s_delay_alu instid0(VALU_DEP_3) | instskip(NEXT) | instid1(VALU_DEP_3)
	v_add_co_ci_u32_e64 v39, s0, v46, v21, s0
	v_add_co_u32 v45, s0, v45, v22
	s_wait_alu 0xf1ff
	v_add_co_ci_u32_e64 v46, s0, v46, v23, s0
	s_clause 0x7
	global_load_b64 v[24:25], v[14:15], off
	global_load_b64 v[22:23], v[16:17], off
	;; [unrolled: 1-line block ×8, first 2 shown]
	v_dual_mov_b32 v38, v27 :: v_dual_mov_b32 v41, v29
	v_mov_b32_e32 v39, v26
.LBB0_8:
	s_or_b32 exec_lo, exec_lo, s1
	v_dual_add_f32 v42, v12, v10 :: v_dual_add_f32 v45, v13, v11
	v_dual_add_f32 v43, v4, v12 :: v_dual_sub_f32 v44, v13, v11
	v_sub_f32_e32 v12, v12, v10
	s_delay_alu instid0(VALU_DEP_3) | instskip(NEXT) | instid1(VALU_DEP_3)
	v_dual_fmac_f32 v4, -0.5, v42 :: v_dual_add_f32 v13, v5, v13
	v_dual_add_f32 v42, v43, v10 :: v_dual_fmac_f32 v5, -0.5, v45
	s_wait_loadcnt 0x6
	v_add_f32_e32 v10, v24, v22
	s_delay_alu instid0(VALU_DEP_3)
	v_fmamk_f32 v43, v44, 0x3f5db3d7, v4
	v_dual_fmac_f32 v4, 0xbf5db3d7, v44 :: v_dual_add_f32 v11, v13, v11
	v_add_f32_e32 v13, v24, v2
	v_fmamk_f32 v48, v12, 0xbf5db3d7, v5
	v_dual_fmac_f32 v5, 0x3f5db3d7, v12 :: v_dual_add_f32 v12, v25, v23
	v_fmac_f32_e32 v2, -0.5, v10
	v_sub_f32_e32 v10, v25, v23
	v_add_f32_e32 v25, v25, v3
	v_add_f32_e32 v13, v22, v13
	v_dual_fmac_f32 v3, -0.5, v12 :: v_dual_sub_f32 v12, v24, v22
	v_mul_u32_u24_e32 v40, 0xc0, v40
	s_delay_alu instid0(VALU_DEP_4)
	v_dual_add_f32 v23, v23, v25 :: v_dual_fmamk_f32 v22, v10, 0x3f5db3d7, v2
	s_wait_loadcnt 0x4
	v_dual_fmac_f32 v2, 0xbf5db3d7, v10 :: v_dual_add_f32 v25, v6, v20
	s_wait_loadcnt 0x3
	v_add_f32_e32 v10, v18, v20
	v_fmamk_f32 v24, v12, 0xbf5db3d7, v3
	v_dual_fmac_f32 v3, 0x3f5db3d7, v12 :: v_dual_add_f32 v12, v19, v21
	s_delay_alu instid0(VALU_DEP_3) | instskip(SKIP_2) | instid1(VALU_DEP_2)
	v_dual_add_f32 v25, v18, v25 :: v_dual_fmac_f32 v6, -0.5, v10
	v_dual_sub_f32 v10, v21, v19 :: v_dual_add_f32 v21, v7, v21
	v_cmp_gt_u32_e64 s0, 12, v28
	v_add_f32_e32 v19, v19, v21
	s_wait_loadcnt 0x0
	v_add_f32_e32 v21, v14, v16
	v_dual_fmac_f32 v7, -0.5, v12 :: v_dual_sub_f32 v12, v20, v18
	v_fmamk_f32 v18, v10, 0x3f5db3d7, v6
	v_fmac_f32_e32 v6, 0xbf5db3d7, v10
	v_add_f32_e32 v10, v8, v14
	v_fmac_f32_e32 v8, -0.5, v21
	v_dual_sub_f32 v21, v15, v17 :: v_dual_fmamk_f32 v20, v12, 0xbf5db3d7, v7
	v_fmac_f32_e32 v7, 0x3f5db3d7, v12
	s_delay_alu instid0(VALU_DEP_4) | instskip(SKIP_3) | instid1(VALU_DEP_2)
	v_add_f32_e32 v12, v10, v16
	v_sub_f32_e32 v14, v14, v16
	v_dual_add_f32 v10, v15, v17 :: v_dual_add_f32 v15, v9, v15
	v_fmamk_f32 v16, v21, 0x3f5db3d7, v8
	v_dual_fmac_f32 v8, 0xbf5db3d7, v21 :: v_dual_fmac_f32 v9, -0.5, v10
	s_delay_alu instid0(VALU_DEP_3) | instskip(NEXT) | instid1(VALU_DEP_2)
	v_dual_add_f32 v17, v15, v17 :: v_dual_lshlrev_b32 v40, 2, v40
	v_fmamk_f32 v49, v14, 0xbf5db3d7, v9
	s_delay_alu instid0(VALU_DEP_2) | instskip(NEXT) | instid1(VALU_DEP_1)
	v_dual_fmac_f32 v9, 0x3f5db3d7, v14 :: v_dual_add_nc_u32 v10, 0, v40
	v_mad_u32_u24 v21, v28, 12, v10
	v_mad_i32_i24 v50, v38, 12, v10
	v_mad_i32_i24 v51, v39, 12, v10
	ds_store_2addr_b32 v21, v42, v43 offset1:1
	ds_store_b32 v21, v4 offset:8
	v_mad_i32_i24 v4, v41, 12, v10
	ds_store_2addr_b32 v50, v13, v22 offset1:1
	ds_store_b32 v50, v2 offset:8
	ds_store_2addr_b32 v51, v25, v18 offset1:1
	ds_store_b32 v51, v6 offset:8
	;; [unrolled: 2-line block ×3, first 2 shown]
	v_lshlrev_b32_e32 v2, 2, v28
	v_lshlrev_b32_e32 v6, 3, v41
	global_wb scope:SCOPE_SE
	s_wait_dscnt 0x0
	s_wait_kmcnt 0x0
	s_barrier_signal -1
	s_barrier_wait -1
	v_add3_u32 v12, 0, v2, v40
	v_add_nc_u32_e32 v13, v10, v2
	v_lshlrev_b32_e32 v2, 3, v38
	v_sub_nc_u32_e32 v14, v4, v6
	v_lshlrev_b32_e32 v6, 3, v39
	global_inv scope:SCOPE_SE
	ds_load_2addr_b32 v[42:43], v12 offset0:128 offset1:144
	v_sub_nc_u32_e32 v15, v50, v2
	v_mul_lo_u16 v2, 0x56, v28
	v_sub_nc_u32_e32 v16, v51, v6
	ds_load_2addr_b32 v[40:41], v12 offset0:96 offset1:112
	ds_load_2addr_b32 v[44:45], v12 offset0:64 offset1:80
	;; [unrolled: 1-line block ×3, first 2 shown]
	ds_load_b32 v25, v13
	ds_load_b32 v62, v14
	;; [unrolled: 1-line block ×4, first 2 shown]
	v_lshrrev_b16 v52, 8, v2
	v_and_b32_e32 v2, 0xff, v38
	global_wb scope:SCOPE_SE
	s_wait_dscnt 0x0
	s_barrier_signal -1
	s_barrier_wait -1
	global_inv scope:SCOPE_SE
	ds_store_2addr_b32 v21, v11, v48 offset1:1
	ds_store_b32 v21, v5 offset:8
	v_mul_lo_u16 v5, v52, 3
	v_mul_lo_u16 v2, 0xab, v2
	v_and_b32_e32 v6, 0xff, v39
	ds_store_2addr_b32 v50, v23, v24 offset1:1
	ds_store_b32 v50, v3 offset:8
	ds_store_2addr_b32 v51, v19, v20 offset1:1
	ds_store_b32 v51, v7 offset:8
	v_sub_nc_u16 v11, v28, v5
	v_lshrrev_b16 v53, 9, v2
	v_mul_lo_u16 v54, 0xab, v6
	ds_store_2addr_b32 v4, v17, v49 offset1:1
	ds_store_b32 v4, v9 offset:8
	global_wb scope:SCOPE_SE
	s_wait_dscnt 0x0
	v_mul_lo_u16 v3, v11, 3
	v_mul_lo_u16 v5, v53, 3
	v_lshrrev_b16 v55, 9, v54
	s_barrier_signal -1
	s_barrier_wait -1
	v_and_b32_e32 v3, 0xff, v3
	v_sub_nc_u16 v65, v38, v5
	v_mul_lo_u16 v4, v55, 3
	global_inv scope:SCOPE_SE
	v_lshrrev_b16 v68, 11, v2
	v_lshlrev_b32_e32 v3, 3, v3
	v_mul_lo_u16 v8, v65, 3
	v_sub_nc_u16 v66, v39, v4
	v_lshrrev_b16 v69, 11, v54
	v_mul_lo_u16 v54, v52, 12
	global_load_b128 v[4:7], v3, s[6:7]
	v_and_b32_e32 v17, 0xff, v8
	v_mul_lo_u16 v18, v66, 3
	global_load_b64 v[8:9], v3, s[6:7] offset:16
	v_mul_lo_u16 v56, v68, 12
	v_mul_lo_u16 v57, v69, 12
	v_lshlrev_b32_e32 v3, 3, v17
	v_and_b32_e32 v21, 0xff, v18
	v_mul_lo_u16 v70, v53, 12
	v_or_b32_e32 v11, v54, v11
	v_sub_nc_u16 v71, v38, v56
	global_load_b128 v[17:20], v3, s[6:7]
	v_lshlrev_b32_e32 v50, 3, v21
	s_clause 0x2
	global_load_b64 v[48:49], v3, s[6:7] offset:16
	global_load_b128 v[21:24], v50, s[6:7]
	global_load_b64 v[50:51], v50, s[6:7] offset:16
	v_add_nc_u32_e32 v3, -12, v28
	v_sub_nc_u16 v72, v39, v57
	v_or_b32_e32 v65, v70, v65
	v_mul_lo_u16 v75, v71, 3
	s_wait_alu 0xf1ff
	v_cndmask_b32_e64 v67, v3, v28, s0
	v_mov_b32_e32 v3, 0
	v_and_b32_e32 v65, 0xff, v65
	v_and_b32_e32 v75, 0xff, v75
	v_mul_lo_u16 v76, v72, 3
	v_mul_i32_i24_e32 v2, 3, v67
	s_delay_alu instid0(VALU_DEP_1)
	v_lshlrev_b64_e32 v[52:53], 3, v[2:3]
	v_mul_lo_u16 v2, v55, 12
	ds_load_2addr_b32 v[54:55], v12 offset0:96 offset1:112
	ds_load_2addr_b32 v[56:57], v12 offset0:128 offset1:144
	ds_load_b32 v73, v13
	ds_load_b32 v74, v14
	ds_load_2addr_b32 v[58:59], v12 offset0:64 offset1:80
	ds_load_2addr_b32 v[60:61], v12 offset0:160 offset1:176
	v_and_b32_e32 v11, 0xff, v11
	v_or_b32_e32 v2, v2, v66
	ds_load_b32 v66, v15
	ds_load_b32 v70, v16
	v_add_co_u32 v52, s0, s6, v52
	s_wait_alu 0xf1ff
	v_add_co_ci_u32_e64 v53, s0, s7, v53, s0
	global_wb scope:SCOPE_SE
	s_wait_loadcnt_dscnt 0x0
	s_barrier_signal -1
	s_barrier_wait -1
	global_inv scope:SCOPE_SE
	v_cmp_lt_u32_e64 s0, 11, v28
	v_mul_f32_e32 v77, v74, v5
	v_mul_f32_e32 v5, v62, v5
	;; [unrolled: 1-line block ×5, first 2 shown]
	v_dual_mul_f32 v9, v43, v9 :: v_dual_and_b32 v2, 0xff, v2
	v_fma_f32 v62, v62, v4, -v77
	v_fmac_f32_e32 v5, v74, v4
	v_fma_f32 v4, v40, v6, -v78
	s_delay_alu instid0(VALU_DEP_4)
	v_fmac_f32_e32 v9, v57, v8
	v_fmac_f32_e32 v7, v54, v6
	v_fma_f32 v6, v43, v8, -v79
	v_mul_f32_e32 v8, v58, v18
	v_mul_f32_e32 v18, v44, v18
	;; [unrolled: 1-line block ×3, first 2 shown]
	v_dual_mul_f32 v20, v41, v20 :: v_dual_mul_f32 v43, v60, v49
	v_dual_mul_f32 v54, v59, v22 :: v_dual_mul_f32 v49, v46, v49
	v_mul_f32_e32 v22, v45, v22
	v_fma_f32 v8, v44, v17, -v8
	v_fmac_f32_e32 v18, v58, v17
	v_fma_f32 v17, v41, v19, -v40
	v_fmac_f32_e32 v49, v60, v48
	v_dual_mul_f32 v57, v56, v24 :: v_dual_mul_f32 v74, v61, v51
	v_dual_mul_f32 v24, v42, v24 :: v_dual_mul_f32 v51, v47, v51
	v_dual_fmac_f32 v20, v55, v19 :: v_dual_sub_f32 v9, v5, v9
	v_fma_f32 v19, v46, v48, -v43
	v_dual_fmac_f32 v22, v59, v21 :: v_dual_sub_f32 v7, v73, v7
	v_dual_sub_f32 v4, v25, v4 :: v_dual_sub_f32 v17, v63, v17
	v_sub_f32_e32 v6, v62, v6
	v_fma_f32 v40, v45, v21, -v54
	v_fma_f32 v21, v42, v23, -v57
	v_dual_fmac_f32 v24, v56, v23 :: v_dual_fmac_f32 v51, v61, v50
	v_fma_f32 v23, v47, v50, -v74
	v_fma_f32 v25, v25, 2.0, -v4
	v_fma_f32 v5, v5, 2.0, -v9
	v_sub_f32_e32 v9, v4, v9
	v_fma_f32 v42, v62, 2.0, -v6
	v_dual_add_f32 v6, v7, v6 :: v_dual_sub_f32 v19, v8, v19
	v_dual_sub_f32 v20, v66, v20 :: v_dual_sub_f32 v21, v64, v21
	s_delay_alu instid0(VALU_DEP_3)
	v_dual_sub_f32 v43, v18, v49 :: v_dual_sub_f32 v42, v25, v42
	v_dual_sub_f32 v24, v70, v24 :: v_dual_sub_f32 v23, v40, v23
	v_fma_f32 v41, v73, 2.0, -v7
	v_sub_f32_e32 v44, v22, v51
	v_fma_f32 v45, v63, 2.0, -v17
	v_fma_f32 v46, v66, 2.0, -v20
	;; [unrolled: 1-line block ×3, first 2 shown]
	v_sub_f32_e32 v5, v41, v5
	v_fma_f32 v18, v18, 2.0, -v43
	v_fma_f32 v47, v64, 2.0, -v21
	;; [unrolled: 1-line block ×5, first 2 shown]
	v_lshl_add_u32 v11, v11, 2, v10
	v_dual_sub_f32 v43, v17, v43 :: v_dual_sub_f32 v18, v46, v18
	v_dual_add_f32 v19, v20, v19 :: v_dual_sub_f32 v44, v21, v44
	v_dual_add_f32 v23, v24, v23 :: v_dual_sub_f32 v8, v45, v8
	v_sub_f32_e32 v40, v47, v40
	v_sub_f32_e32 v22, v48, v22
	v_fma_f32 v4, v4, 2.0, -v9
	v_fma_f32 v7, v7, 2.0, -v6
	;; [unrolled: 1-line block ×4, first 2 shown]
	v_lshl_add_u32 v65, v65, 2, v10
	v_fma_f32 v17, v17, 2.0, -v43
	v_fma_f32 v20, v20, 2.0, -v19
	ds_store_2addr_b32 v11, v42, v9 offset0:6 offset1:9
	v_fma_f32 v9, v45, 2.0, -v8
	v_fma_f32 v46, v46, 2.0, -v18
	v_lshl_add_u32 v2, v2, 2, v10
	v_fma_f32 v21, v21, 2.0, -v44
	v_fma_f32 v41, v47, 2.0, -v40
	;; [unrolled: 1-line block ×4, first 2 shown]
	ds_store_2addr_b32 v11, v25, v4 offset1:3
	ds_store_2addr_b32 v65, v8, v43 offset0:6 offset1:9
	ds_store_2addr_b32 v65, v9, v17 offset1:3
	ds_store_2addr_b32 v2, v41, v21 offset1:3
	ds_store_2addr_b32 v2, v40, v44 offset0:6 offset1:9
	global_wb scope:SCOPE_SE
	s_wait_dscnt 0x0
	s_barrier_signal -1
	s_barrier_wait -1
	global_inv scope:SCOPE_SE
	ds_load_2addr_b32 v[8:9], v12 offset0:96 offset1:112
	ds_load_2addr_b32 v[40:41], v12 offset0:128 offset1:144
	;; [unrolled: 1-line block ×4, first 2 shown]
	ds_load_b32 v25, v13
	ds_load_b32 v60, v14
	;; [unrolled: 1-line block ×4, first 2 shown]
	global_wb scope:SCOPE_SE
	s_wait_dscnt 0x0
	s_barrier_signal -1
	s_barrier_wait -1
	global_inv scope:SCOPE_SE
	ds_store_2addr_b32 v11, v49, v7 offset1:3
	ds_store_2addr_b32 v11, v5, v6 offset0:6 offset1:9
	ds_store_2addr_b32 v65, v46, v20 offset1:3
	ds_store_2addr_b32 v65, v18, v19 offset0:6 offset1:9
	;; [unrolled: 2-line block ×3, first 2 shown]
	v_and_b32_e32 v11, 0xff, v76
	global_wb scope:SCOPE_SE
	s_wait_dscnt 0x0
	s_barrier_signal -1
	s_barrier_wait -1
	global_inv scope:SCOPE_SE
	global_load_b128 v[4:7], v[52:53], off offset:72
	v_lshlrev_b32_e32 v2, 3, v75
	s_clause 0x1
	global_load_b64 v[46:47], v[52:53], off offset:88
	global_load_b128 v[17:20], v2, s[6:7] offset:72
	v_lshlrev_b32_e32 v11, 3, v11
	s_clause 0x2
	global_load_b64 v[48:49], v2, s[6:7] offset:88
	global_load_b128 v[21:24], v11, s[6:7] offset:72
	global_load_b64 v[50:51], v11, s[6:7] offset:88
	s_wait_alu 0xf1ff
	v_cndmask_b32_e64 v56, 0, 48, s0
	ds_load_b32 v63, v14
	v_mul_lo_u16 v2, v68, 48
	v_mul_lo_u16 v11, v69, 48
	ds_load_2addr_b32 v[52:53], v12 offset0:96 offset1:112
	v_or_b32_e32 v64, v56, v67
	ds_load_2addr_b32 v[56:57], v12 offset0:64 offset1:80
	ds_load_2addr_b32 v[54:55], v12 offset0:128 offset1:144
	ds_load_b32 v65, v13
	ds_load_2addr_b32 v[58:59], v12 offset0:160 offset1:176
	v_or_b32_e32 v2, v2, v71
	v_or_b32_e32 v11, v11, v72
	v_lshl_add_u32 v64, v64, 2, v10
	s_delay_alu instid0(VALU_DEP_3) | instskip(NEXT) | instid1(VALU_DEP_3)
	v_and_b32_e32 v2, 0xff, v2
	v_and_b32_e32 v11, 0xff, v11
	s_wait_loadcnt_dscnt 0x505
	v_mul_f32_e32 v67, v63, v5
	v_mul_f32_e32 v5, v60, v5
	v_lshl_add_u32 v2, v2, 2, v10
	s_wait_dscnt 0x4
	v_mul_f32_e32 v68, v52, v7
	v_mul_f32_e32 v7, v8, v7
	s_wait_loadcnt_dscnt 0x303
	v_mul_f32_e32 v70, v56, v18
	v_mul_f32_e32 v18, v42, v18
	v_lshl_add_u32 v66, v11, 2, v10
	ds_load_b32 v10, v15
	ds_load_b32 v11, v16
	s_wait_dscnt 0x4
	v_mul_f32_e32 v69, v55, v47
	s_wait_loadcnt_dscnt 0x202
	v_dual_mul_f32 v47, v41, v47 :: v_dual_mul_f32 v72, v58, v49
	v_mul_f32_e32 v71, v53, v20
	v_dual_mul_f32 v20, v9, v20 :: v_dual_mul_f32 v49, v44, v49
	s_wait_loadcnt 0x1
	v_dual_mul_f32 v73, v57, v22 :: v_dual_mul_f32 v74, v54, v24
	v_mul_f32_e32 v22, v43, v22
	s_wait_loadcnt 0x0
	v_dual_mul_f32 v24, v40, v24 :: v_dual_mul_f32 v75, v59, v51
	v_dual_mul_f32 v51, v45, v51 :: v_dual_fmac_f32 v18, v56, v17
	v_fma_f32 v60, v60, v4, -v67
	v_dual_fmac_f32 v5, v63, v4 :: v_dual_fmac_f32 v20, v53, v19
	v_fma_f32 v4, v8, v6, -v68
	v_dual_fmac_f32 v7, v52, v6 :: v_dual_fmac_f32 v22, v57, v21
	;; [unrolled: 2-line block ×3, first 2 shown]
	v_fma_f32 v8, v42, v17, -v70
	v_fma_f32 v9, v9, v19, -v71
	;; [unrolled: 1-line block ×3, first 2 shown]
	v_fmac_f32_e32 v49, v58, v48
	v_fma_f32 v19, v43, v21, -v73
	v_fma_f32 v21, v40, v23, -v74
	v_sub_f32_e32 v40, v65, v7
	v_fma_f32 v23, v45, v50, -v75
	v_dual_fmac_f32 v51, v59, v50 :: v_dual_sub_f32 v4, v25, v4
	v_dual_sub_f32 v6, v60, v6 :: v_dual_sub_f32 v7, v5, v47
	s_wait_dscnt 0x0
	v_dual_sub_f32 v9, v61, v9 :: v_dual_sub_f32 v24, v11, v24
	s_delay_alu instid0(VALU_DEP_3)
	v_dual_sub_f32 v17, v8, v17 :: v_dual_sub_f32 v42, v22, v51
	v_sub_f32_e32 v21, v62, v21
	v_sub_f32_e32 v41, v10, v20
	v_dual_sub_f32 v20, v18, v49 :: v_dual_sub_f32 v23, v19, v23
	v_fma_f32 v25, v25, 2.0, -v4
	v_fma_f32 v44, v60, 2.0, -v6
	;; [unrolled: 1-line block ×4, first 2 shown]
	v_add_f32_e32 v45, v40, v6
	v_fma_f32 v6, v61, 2.0, -v9
	v_fma_f32 v8, v8, 2.0, -v17
	;; [unrolled: 1-line block ×4, first 2 shown]
	v_sub_f32_e32 v18, v9, v20
	v_fma_f32 v48, v11, 2.0, -v24
	v_fma_f32 v11, v19, 2.0, -v23
	v_sub_f32_e32 v20, v21, v42
	v_add_f32_e32 v47, v41, v17
	v_fma_f32 v17, v62, 2.0, -v21
	v_sub_f32_e32 v7, v4, v7
	v_fma_f32 v19, v22, 2.0, -v42
	v_sub_f32_e32 v42, v43, v5
	v_dual_add_f32 v22, v24, v23 :: v_dual_sub_f32 v23, v25, v44
	v_sub_f32_e32 v44, v46, v10
	v_sub_f32_e32 v5, v6, v8
	v_fma_f32 v8, v9, 2.0, -v18
	v_sub_f32_e32 v9, v17, v11
	v_fma_f32 v4, v4, 2.0, -v7
	v_fma_f32 v11, v25, 2.0, -v23
	;; [unrolled: 1-line block ×5, first 2 shown]
	global_wb scope:SCOPE_SE
	s_barrier_signal -1
	s_barrier_wait -1
	global_inv scope:SCOPE_SE
	v_sub_f32_e32 v49, v48, v19
	ds_store_2addr_b32 v64, v23, v7 offset0:24 offset1:36
	ds_store_2addr_b32 v64, v11, v4 offset1:12
	ds_store_2addr_b32 v2, v6, v8 offset1:12
	ds_store_2addr_b32 v2, v5, v18 offset0:24 offset1:36
	ds_store_2addr_b32 v66, v17, v10 offset1:12
	ds_store_2addr_b32 v66, v9, v20 offset0:24 offset1:36
	global_wb scope:SCOPE_SE
	s_wait_dscnt 0x0
	s_barrier_signal -1
	s_barrier_wait -1
	global_inv scope:SCOPE_SE
	ds_load_2addr_b32 v[4:5], v12 offset0:96 offset1:112
	ds_load_2addr_b32 v[10:11], v12 offset0:128 offset1:144
	;; [unrolled: 1-line block ×4, first 2 shown]
	ds_load_b32 v19, v13
	ds_load_b32 v20, v14
	;; [unrolled: 1-line block ×4, first 2 shown]
	v_fma_f32 v21, v43, 2.0, -v42
	v_fma_f32 v23, v40, 2.0, -v45
	;; [unrolled: 1-line block ×6, first 2 shown]
	global_wb scope:SCOPE_SE
	s_wait_dscnt 0x0
	s_barrier_signal -1
	s_barrier_wait -1
	global_inv scope:SCOPE_SE
	ds_store_2addr_b32 v64, v21, v23 offset1:12
	ds_store_2addr_b32 v64, v42, v45 offset0:24 offset1:36
	ds_store_2addr_b32 v2, v25, v40 offset1:12
	ds_store_2addr_b32 v2, v44, v47 offset0:24 offset1:36
	;; [unrolled: 2-line block ×3, first 2 shown]
	global_wb scope:SCOPE_SE
	s_wait_dscnt 0x0
	s_barrier_signal -1
	s_barrier_wait -1
	global_inv scope:SCOPE_SE
	s_and_saveexec_b32 s0, vcc_lo
	s_cbranch_execz .LBB0_10
; %bb.9:
	v_mul_i32_i24_e32 v2, 3, v39
	v_mul_u32_u24_e32 v21, 3, v28
	v_mad_co_u64_u32 v[54:55], null, s2, v28, 0
	v_mad_co_u64_u32 v[56:57], null, s2, v37, 0
	s_delay_alu instid0(VALU_DEP_4)
	v_lshlrev_b64_e32 v[39:40], 3, v[2:3]
	v_mul_i32_i24_e32 v2, 3, v38
	v_lshlrev_b32_e32 v25, 3, v21
	v_mad_co_u64_u32 v[58:59], null, s2, v35, 0
	s_clause 0x1
	global_load_b128 v[21:24], v25, s[6:7] offset:360
	global_load_b64 v[46:47], v25, s[6:7] offset:376
	v_lshlrev_b64_e32 v[2:3], 3, v[2:3]
	v_add_co_u32 v42, vcc_lo, s6, v39
	s_wait_alu 0xfffd
	v_add_co_ci_u32_e32 v43, vcc_lo, s7, v40, vcc_lo
	s_clause 0x1
	global_load_b128 v[38:41], v[42:43], off offset:360
	global_load_b64 v[48:49], v[42:43], off offset:376
	v_add_co_u32 v2, vcc_lo, s6, v2
	s_wait_alu 0xfffd
	v_add_co_ci_u32_e32 v3, vcc_lo, s7, v3, vcc_lo
	s_clause 0x1
	global_load_b128 v[42:45], v[2:3], off offset:360
	global_load_b64 v[2:3], v[2:3], off offset:376
	v_add_co_u32 v83, vcc_lo, s4, v0
	v_mad_co_u64_u32 v[60:61], null, s2, v27, 0
	s_wait_alu 0xfffd
	v_add_co_ci_u32_e32 v84, vcc_lo, s5, v1, vcc_lo
	v_mad_co_u64_u32 v[0:1], null, s2, v29, 0
	v_mad_co_u64_u32 v[62:63], null, s2, v33, 0
	;; [unrolled: 1-line block ×6, first 2 shown]
	v_mov_b32_e32 v25, v55
	v_mov_b32_e32 v55, v57
	;; [unrolled: 1-line block ×4, first 2 shown]
	ds_load_2addr_b32 v[50:51], v12 offset0:128 offset1:144
	ds_load_2addr_b32 v[52:53], v12 offset0:64 offset1:80
	v_mad_co_u64_u32 v[76:77], null, s3, v28, v[25:26]
	v_mad_co_u64_u32 v[77:78], null, s3, v37, v[55:56]
	v_mov_b32_e32 v61, v63
	v_mov_b32_e32 v25, v67
	v_mad_co_u64_u32 v[78:79], null, s3, v35, v[57:58]
	v_mad_co_u64_u32 v[79:80], null, s3, v27, v[59:60]
	v_mov_b32_e32 v27, v71
	v_mad_co_u64_u32 v[80:81], null, s3, v33, v[61:62]
	v_mad_co_u64_u32 v[33:34], null, s3, v34, v[25:26]
	;; [unrolled: 1-line block ×4, first 2 shown]
	s_delay_alu instid0(VALU_DEP_3) | instskip(SKIP_4) | instid1(VALU_DEP_2)
	v_mov_b32_e32 v67, v33
	s_wait_loadcnt 0x0
	v_mad_co_u64_u32 v[28:29], null, s3, v29, v[1:2]
	v_mov_b32_e32 v1, v69
	v_mov_b32_e32 v29, v73
	v_mad_co_u64_u32 v[25:26], null, s3, v26, v[1:2]
	s_delay_alu instid0(VALU_DEP_2)
	v_mad_co_u64_u32 v[29:30], null, s3, v30, v[29:30]
	v_mad_co_u64_u32 v[26:27], null, s3, v31, v[27:28]
	ds_load_2addr_b32 v[30:31], v12 offset0:160 offset1:176
	ds_load_2addr_b32 v[81:82], v12 offset0:96 offset1:112
	ds_load_b32 v85, v13
	ds_load_b32 v16, v16
	;; [unrolled: 1-line block ×4, first 2 shown]
	v_mov_b32_e32 v63, v65
	v_mov_b32_e32 v73, v29
	v_mul_f32_e32 v29, v4, v24
	s_delay_alu instid0(VALU_DEP_3) | instskip(SKIP_2) | instid1(VALU_DEP_3)
	v_mad_co_u64_u32 v[35:36], null, s3, v36, v[63:64]
	s_wait_dscnt 0x4
	v_mul_f32_e32 v24, v81, v24
	v_fmac_f32_e32 v29, v81, v23
	s_delay_alu instid0(VALU_DEP_2)
	v_fma_f32 v4, v4, v23, -v24
	v_dual_mul_f32 v23, v53, v39 :: v_dual_mul_f32 v24, v31, v49
	v_mul_f32_e32 v39, v7, v39
	s_wait_dscnt 0x3
	v_sub_f32_e32 v29, v85, v29
	v_mov_b32_e32 v1, v75
	v_fma_f32 v23, v7, v38, -v23
	v_fma_f32 v7, v9, v48, -v24
	v_dual_mul_f32 v24, v5, v45 :: v_dual_mov_b32 v55, v76
	s_delay_alu instid0(VALU_DEP_4) | instskip(SKIP_1) | instid1(VALU_DEP_3)
	v_mad_co_u64_u32 v[36:37], null, s3, v32, v[1:2]
	v_fmac_f32_e32 v39, v38, v53
	v_dual_fmac_f32 v24, v82, v44 :: v_dual_mov_b32 v63, v80
	v_mul_f32_e32 v38, v82, v45
	v_lshlrev_b64_e32 v[12:13], 3, v[54:55]
	s_wait_dscnt 0x1
	s_delay_alu instid0(VALU_DEP_3)
	v_sub_f32_e32 v24, v86, v24
	v_lshlrev_b64_e32 v[32:33], 3, v[62:63]
	s_wait_dscnt 0x0
	v_mul_f32_e32 v62, v87, v22
	v_dual_mul_f32 v22, v20, v22 :: v_dual_mul_f32 v63, v51, v47
	v_mul_f32_e32 v47, v11, v47
	v_fma_f32 v38, v5, v44, -v38
	s_delay_alu instid0(VALU_DEP_4) | instskip(NEXT) | instid1(VALU_DEP_4)
	v_fma_f32 v20, v20, v21, -v62
	v_dual_fmac_f32 v22, v21, v87 :: v_dual_mul_f32 v21, v10, v41
	v_mul_f32_e32 v41, v50, v41
	v_fma_f32 v11, v11, v46, -v63
	v_dual_fmac_f32 v47, v46, v51 :: v_dual_mul_f32 v46, v9, v49
	s_delay_alu instid0(VALU_DEP_4) | instskip(NEXT) | instid1(VALU_DEP_4)
	v_fmac_f32_e32 v21, v50, v40
	v_fma_f32 v9, v10, v40, -v41
	v_dual_mul_f32 v40, v6, v43 :: v_dual_mov_b32 v1, v28
	v_sub_f32_e32 v11, v20, v11
	v_sub_f32_e32 v49, v19, v4
	v_sub_f32_e32 v47, v22, v47
	s_delay_alu instid0(VALU_DEP_4)
	v_fmac_f32_e32 v40, v42, v52
	v_fmac_f32_e32 v46, v48, v31
	v_mul_f32_e32 v10, v52, v43
	v_mul_f32_e32 v31, v30, v3
	;; [unrolled: 1-line block ×3, first 2 shown]
	v_mov_b32_e32 v57, v77
	v_lshlrev_b64_e32 v[0:1], 3, v[0:1]
	v_add_f32_e32 v4, v29, v11
	v_sub_f32_e32 v3, v49, v47
	v_fma_f32 v43, v85, 2.0, -v29
	v_fma_f32 v22, v22, 2.0, -v47
	v_mov_b32_e32 v59, v78
	v_fma_f32 v45, v19, 2.0, -v49
	v_fma_f32 v11, v20, 2.0, -v11
	v_dual_sub_f32 v20, v16, v21 :: v_dual_sub_f32 v19, v23, v7
	v_sub_f32_e32 v47, v18, v9
	v_sub_f32_e32 v21, v39, v46
	v_fma_f32 v46, v6, v42, -v10
	v_fma_f32 v31, v8, v2, -v31
	v_sub_f32_e32 v8, v43, v22
	v_fmac_f32_e32 v41, v2, v30
	v_lshlrev_b64_e32 v[14:15], 3, v[56:57]
	v_add_co_u32 v12, vcc_lo, v83, v12
	v_dual_mov_b32 v61, v79 :: v_dual_add_f32 v10, v20, v19
	s_wait_alu 0xfffd
	v_add_co_ci_u32_e32 v13, vcc_lo, v84, v13, vcc_lo
	v_dual_mov_b32 v65, v35 :: v_dual_sub_f32 v30, v46, v31
	v_add_co_u32 v0, vcc_lo, v83, v0
	v_fma_f32 v6, v29, 2.0, -v4
	v_fma_f32 v2, v16, 2.0, -v20
	;; [unrolled: 1-line block ×4, first 2 shown]
	v_mov_b32_e32 v71, v26
	v_dual_sub_f32 v31, v17, v38 :: v_dual_sub_f32 v38, v40, v41
	v_mov_b32_e32 v69, v25
	v_lshlrev_b64_e32 v[25:26], 3, v[58:59]
	s_wait_alu 0xfffd
	v_add_co_ci_u32_e32 v1, vcc_lo, v84, v1, vcc_lo
	v_lshlrev_b64_e32 v[27:28], 3, v[60:61]
	v_add_co_u32 v14, vcc_lo, v83, v14
	s_wait_alu 0xfffd
	v_add_co_ci_u32_e32 v15, vcc_lo, v84, v15, vcc_lo
	v_add_co_u32 v25, vcc_lo, v83, v25
	s_wait_alu 0xfffd
	v_add_co_ci_u32_e32 v26, vcc_lo, v84, v26, vcc_lo
	v_lshlrev_b64_e32 v[34:35], 3, v[64:65]
	v_add_co_u32 v27, vcc_lo, v83, v27
	s_wait_alu 0xfffd
	v_add_co_ci_u32_e32 v28, vcc_lo, v84, v28, vcc_lo
	v_sub_f32_e32 v7, v45, v11
	v_fma_f32 v11, v39, 2.0, -v21
	v_mov_b32_e32 v75, v36
	v_lshlrev_b64_e32 v[36:37], 3, v[66:67]
	v_add_co_u32 v32, vcc_lo, v83, v32
	s_wait_alu 0xfffd
	v_add_co_ci_u32_e32 v33, vcc_lo, v84, v33, vcc_lo
	v_add_co_u32 v34, vcc_lo, v83, v34
	v_sub_f32_e32 v22, v29, v16
	v_sub_f32_e32 v16, v31, v38
	v_lshlrev_b64_e32 v[54:55], 3, v[68:69]
	v_fma_f32 v19, v43, 2.0, -v8
	v_fma_f32 v18, v45, 2.0, -v7
	v_sub_f32_e32 v23, v2, v11
	v_fma_f32 v39, v86, 2.0, -v24
	v_fma_f32 v11, v40, 2.0, -v38
	s_wait_alu 0xfffd
	v_add_co_ci_u32_e32 v35, vcc_lo, v84, v35, vcc_lo
	v_fma_f32 v40, v17, 2.0, -v31
	v_fma_f32 v41, v46, 2.0, -v30
	v_lshlrev_b64_e32 v[56:57], 3, v[70:71]
	v_add_co_u32 v36, vcc_lo, v83, v36
	s_wait_alu 0xfffd
	v_add_co_ci_u32_e32 v37, vcc_lo, v84, v37, vcc_lo
	v_add_co_u32 v54, vcc_lo, v83, v54
	global_store_b64 v[12:13], v[18:19], off
	v_sub_f32_e32 v12, v39, v11
	v_lshlrev_b64_e32 v[58:59], 3, v[72:73]
	v_fma_f32 v5, v49, 2.0, -v3
	v_sub_f32_e32 v11, v40, v41
	s_wait_alu 0xfffd
	v_add_co_ci_u32_e32 v55, vcc_lo, v84, v55, vcc_lo
	v_add_f32_e32 v17, v24, v30
	v_lshlrev_b64_e32 v[60:61], 3, v[74:75]
	v_add_co_u32 v56, vcc_lo, v83, v56
	s_wait_alu 0xfffd
	v_add_co_ci_u32_e32 v57, vcc_lo, v84, v57, vcc_lo
	v_add_co_u32 v58, vcc_lo, v83, v58
	v_sub_f32_e32 v9, v47, v21
	s_clause 0x1
	global_store_b64 v[0:1], v[5:6], off
	global_store_b64 v[14:15], v[7:8], off
	v_fma_f32 v6, v39, 2.0, -v12
	v_fma_f32 v5, v40, 2.0, -v11
	;; [unrolled: 1-line block ×4, first 2 shown]
	s_wait_alu 0xfffd
	v_add_co_ci_u32_e32 v59, vcc_lo, v84, v59, vcc_lo
	v_add_co_u32 v60, vcc_lo, v83, v60
	global_store_b64 v[25:26], v[3:4], off
	v_fma_f32 v3, v2, 2.0, -v23
	v_fma_f32 v2, v29, 2.0, -v22
	s_wait_alu 0xfffd
	v_add_co_ci_u32_e32 v61, vcc_lo, v84, v61, vcc_lo
	v_fma_f32 v21, v20, 2.0, -v10
	v_fma_f32 v20, v47, 2.0, -v9
	s_clause 0x7
	global_store_b64 v[27:28], v[5:6], off
	global_store_b64 v[32:33], v[0:1], off
	;; [unrolled: 1-line block ×8, first 2 shown]
.LBB0_10:
	s_nop 0
	s_sendmsg sendmsg(MSG_DEALLOC_VGPRS)
	s_endpgm
	.section	.rodata,"a",@progbits
	.p2align	6, 0x0
	.amdhsa_kernel fft_rtc_fwd_len192_factors_3_4_4_4_wgs_256_tpt_16_halfLds_dim3_sp_ip_CI_sbrr_dirReg
		.amdhsa_group_segment_fixed_size 0
		.amdhsa_private_segment_fixed_size 0
		.amdhsa_kernarg_size 80
		.amdhsa_user_sgpr_count 2
		.amdhsa_user_sgpr_dispatch_ptr 0
		.amdhsa_user_sgpr_queue_ptr 0
		.amdhsa_user_sgpr_kernarg_segment_ptr 1
		.amdhsa_user_sgpr_dispatch_id 0
		.amdhsa_user_sgpr_private_segment_size 0
		.amdhsa_wavefront_size32 1
		.amdhsa_uses_dynamic_stack 0
		.amdhsa_enable_private_segment 0
		.amdhsa_system_sgpr_workgroup_id_x 1
		.amdhsa_system_sgpr_workgroup_id_y 0
		.amdhsa_system_sgpr_workgroup_id_z 0
		.amdhsa_system_sgpr_workgroup_info 0
		.amdhsa_system_vgpr_workitem_id 0
		.amdhsa_next_free_vgpr 88
		.amdhsa_next_free_sgpr 16
		.amdhsa_reserve_vcc 1
		.amdhsa_float_round_mode_32 0
		.amdhsa_float_round_mode_16_64 0
		.amdhsa_float_denorm_mode_32 3
		.amdhsa_float_denorm_mode_16_64 3
		.amdhsa_fp16_overflow 0
		.amdhsa_workgroup_processor_mode 1
		.amdhsa_memory_ordered 1
		.amdhsa_forward_progress 0
		.amdhsa_round_robin_scheduling 0
		.amdhsa_exception_fp_ieee_invalid_op 0
		.amdhsa_exception_fp_denorm_src 0
		.amdhsa_exception_fp_ieee_div_zero 0
		.amdhsa_exception_fp_ieee_overflow 0
		.amdhsa_exception_fp_ieee_underflow 0
		.amdhsa_exception_fp_ieee_inexact 0
		.amdhsa_exception_int_div_zero 0
	.end_amdhsa_kernel
	.text
.Lfunc_end0:
	.size	fft_rtc_fwd_len192_factors_3_4_4_4_wgs_256_tpt_16_halfLds_dim3_sp_ip_CI_sbrr_dirReg, .Lfunc_end0-fft_rtc_fwd_len192_factors_3_4_4_4_wgs_256_tpt_16_halfLds_dim3_sp_ip_CI_sbrr_dirReg
                                        ; -- End function
	.section	.AMDGPU.csdata,"",@progbits
; Kernel info:
; codeLenInByte = 6100
; NumSgprs: 18
; NumVgprs: 88
; ScratchSize: 0
; MemoryBound: 0
; FloatMode: 240
; IeeeMode: 1
; LDSByteSize: 0 bytes/workgroup (compile time only)
; SGPRBlocks: 2
; VGPRBlocks: 10
; NumSGPRsForWavesPerEU: 18
; NumVGPRsForWavesPerEU: 88
; Occupancy: 16
; WaveLimiterHint : 1
; COMPUTE_PGM_RSRC2:SCRATCH_EN: 0
; COMPUTE_PGM_RSRC2:USER_SGPR: 2
; COMPUTE_PGM_RSRC2:TRAP_HANDLER: 0
; COMPUTE_PGM_RSRC2:TGID_X_EN: 1
; COMPUTE_PGM_RSRC2:TGID_Y_EN: 0
; COMPUTE_PGM_RSRC2:TGID_Z_EN: 0
; COMPUTE_PGM_RSRC2:TIDIG_COMP_CNT: 0
	.text
	.p2alignl 7, 3214868480
	.fill 96, 4, 3214868480
	.type	__hip_cuid_7ceeece6bd0f3d43,@object ; @__hip_cuid_7ceeece6bd0f3d43
	.section	.bss,"aw",@nobits
	.globl	__hip_cuid_7ceeece6bd0f3d43
__hip_cuid_7ceeece6bd0f3d43:
	.byte	0                               ; 0x0
	.size	__hip_cuid_7ceeece6bd0f3d43, 1

	.ident	"AMD clang version 19.0.0git (https://github.com/RadeonOpenCompute/llvm-project roc-6.4.0 25133 c7fe45cf4b819c5991fe208aaa96edf142730f1d)"
	.section	".note.GNU-stack","",@progbits
	.addrsig
	.addrsig_sym __hip_cuid_7ceeece6bd0f3d43
	.amdgpu_metadata
---
amdhsa.kernels:
  - .args:
      - .actual_access:  read_only
        .address_space:  global
        .offset:         0
        .size:           8
        .value_kind:     global_buffer
      - .actual_access:  read_only
        .address_space:  global
        .offset:         8
        .size:           8
        .value_kind:     global_buffer
      - .actual_access:  read_only
        .address_space:  global
        .offset:         16
        .size:           8
        .value_kind:     global_buffer
      - .offset:         24
        .size:           8
        .value_kind:     by_value
      - .actual_access:  read_only
        .address_space:  global
        .offset:         32
        .size:           8
        .value_kind:     global_buffer
      - .actual_access:  read_only
        .address_space:  global
        .offset:         40
        .size:           8
        .value_kind:     global_buffer
      - .offset:         48
        .size:           4
        .value_kind:     by_value
      - .actual_access:  read_only
        .address_space:  global
        .offset:         56
        .size:           8
        .value_kind:     global_buffer
      - .actual_access:  read_only
        .address_space:  global
        .offset:         64
        .size:           8
        .value_kind:     global_buffer
      - .address_space:  global
        .offset:         72
        .size:           8
        .value_kind:     global_buffer
    .group_segment_fixed_size: 0
    .kernarg_segment_align: 8
    .kernarg_segment_size: 80
    .language:       OpenCL C
    .language_version:
      - 2
      - 0
    .max_flat_workgroup_size: 256
    .name:           fft_rtc_fwd_len192_factors_3_4_4_4_wgs_256_tpt_16_halfLds_dim3_sp_ip_CI_sbrr_dirReg
    .private_segment_fixed_size: 0
    .sgpr_count:     18
    .sgpr_spill_count: 0
    .symbol:         fft_rtc_fwd_len192_factors_3_4_4_4_wgs_256_tpt_16_halfLds_dim3_sp_ip_CI_sbrr_dirReg.kd
    .uniform_work_group_size: 1
    .uses_dynamic_stack: false
    .vgpr_count:     88
    .vgpr_spill_count: 0
    .wavefront_size: 32
    .workgroup_processor_mode: 1
amdhsa.target:   amdgcn-amd-amdhsa--gfx1201
amdhsa.version:
  - 1
  - 2
...

	.end_amdgpu_metadata
